;; amdgpu-corpus repo=ROCm/rocFFT kind=compiled arch=gfx1100 opt=O3
	.text
	.amdgcn_target "amdgcn-amd-amdhsa--gfx1100"
	.amdhsa_code_object_version 6
	.protected	fft_rtc_back_len165_factors_11_5_3_wgs_55_tpt_11_dp_ip_CI_sbrr_dirReg ; -- Begin function fft_rtc_back_len165_factors_11_5_3_wgs_55_tpt_11_dp_ip_CI_sbrr_dirReg
	.globl	fft_rtc_back_len165_factors_11_5_3_wgs_55_tpt_11_dp_ip_CI_sbrr_dirReg
	.p2align	8
	.type	fft_rtc_back_len165_factors_11_5_3_wgs_55_tpt_11_dp_ip_CI_sbrr_dirReg,@function
fft_rtc_back_len165_factors_11_5_3_wgs_55_tpt_11_dp_ip_CI_sbrr_dirReg: ; @fft_rtc_back_len165_factors_11_5_3_wgs_55_tpt_11_dp_ip_CI_sbrr_dirReg
; %bb.0:
	s_clause 0x1
	s_load_b64 s[12:13], s[0:1], 0x18
	s_load_b128 s[4:7], s[0:1], 0x0
	v_mul_u32_u24_e32 v1, 0x1746, v0
	v_mov_b32_e32 v3, 0
	s_load_b64 s[10:11], s[0:1], 0x50
	s_waitcnt lgkmcnt(0)
	s_load_b64 s[8:9], s[12:13], 0x0
	v_lshrrev_b32_e32 v4, 16, v1
	v_cmp_lt_u64_e64 s2, s[6:7], 2
	s_delay_alu instid0(VALU_DEP_2) | instskip(SKIP_4) | instid1(VALU_DEP_1)
	v_mad_u64_u32 v[1:2], null, s15, 5, v[4:5]
	v_mov_b32_e32 v5, 0
	v_mov_b32_e32 v6, 0
	;; [unrolled: 1-line block ×3, first 2 shown]
	s_and_b32 vcc_lo, exec_lo, s2
	v_dual_mov_b32 v10, v2 :: v_dual_mov_b32 v9, v1
	s_cbranch_vccnz .LBB0_8
; %bb.1:
	s_load_b64 s[2:3], s[0:1], 0x10
	v_dual_mov_b32 v5, 0 :: v_dual_mov_b32 v8, v2
	s_add_u32 s14, s12, 8
	v_dual_mov_b32 v6, 0 :: v_dual_mov_b32 v7, v1
	s_addc_u32 s15, s13, 0
	s_mov_b64 s[18:19], 1
	s_waitcnt lgkmcnt(0)
	s_add_u32 s16, s2, 8
	s_addc_u32 s17, s3, 0
.LBB0_2:                                ; =>This Inner Loop Header: Depth=1
	s_load_b64 s[20:21], s[16:17], 0x0
                                        ; implicit-def: $vgpr9_vgpr10
	s_mov_b32 s2, exec_lo
	s_waitcnt lgkmcnt(0)
	v_or_b32_e32 v4, s21, v8
	s_delay_alu instid0(VALU_DEP_1)
	v_cmpx_ne_u64_e32 0, v[3:4]
	s_xor_b32 s3, exec_lo, s2
	s_cbranch_execz .LBB0_4
; %bb.3:                                ;   in Loop: Header=BB0_2 Depth=1
	v_cvt_f32_u32_e32 v2, s20
	v_cvt_f32_u32_e32 v4, s21
	s_sub_u32 s2, 0, s20
	s_subb_u32 s22, 0, s21
	s_delay_alu instid0(VALU_DEP_1) | instskip(NEXT) | instid1(VALU_DEP_1)
	v_fmac_f32_e32 v2, 0x4f800000, v4
	v_rcp_f32_e32 v2, v2
	s_waitcnt_depctr 0xfff
	v_mul_f32_e32 v2, 0x5f7ffffc, v2
	s_delay_alu instid0(VALU_DEP_1) | instskip(NEXT) | instid1(VALU_DEP_1)
	v_mul_f32_e32 v4, 0x2f800000, v2
	v_trunc_f32_e32 v4, v4
	s_delay_alu instid0(VALU_DEP_1) | instskip(SKIP_1) | instid1(VALU_DEP_2)
	v_fmac_f32_e32 v2, 0xcf800000, v4
	v_cvt_u32_f32_e32 v4, v4
	v_cvt_u32_f32_e32 v2, v2
	s_delay_alu instid0(VALU_DEP_2) | instskip(NEXT) | instid1(VALU_DEP_2)
	v_mul_lo_u32 v9, s2, v4
	v_mul_hi_u32 v10, s2, v2
	v_mul_lo_u32 v11, s22, v2
	s_delay_alu instid0(VALU_DEP_2) | instskip(SKIP_1) | instid1(VALU_DEP_2)
	v_add_nc_u32_e32 v9, v10, v9
	v_mul_lo_u32 v10, s2, v2
	v_add_nc_u32_e32 v9, v9, v11
	s_delay_alu instid0(VALU_DEP_2) | instskip(NEXT) | instid1(VALU_DEP_2)
	v_mul_hi_u32 v11, v2, v10
	v_mul_lo_u32 v12, v2, v9
	v_mul_hi_u32 v13, v2, v9
	v_mul_hi_u32 v14, v4, v10
	v_mul_lo_u32 v10, v4, v10
	v_mul_hi_u32 v15, v4, v9
	v_mul_lo_u32 v9, v4, v9
	v_add_co_u32 v11, vcc_lo, v11, v12
	v_add_co_ci_u32_e32 v12, vcc_lo, 0, v13, vcc_lo
	s_delay_alu instid0(VALU_DEP_2) | instskip(NEXT) | instid1(VALU_DEP_2)
	v_add_co_u32 v10, vcc_lo, v11, v10
	v_add_co_ci_u32_e32 v10, vcc_lo, v12, v14, vcc_lo
	v_add_co_ci_u32_e32 v11, vcc_lo, 0, v15, vcc_lo
	s_delay_alu instid0(VALU_DEP_2) | instskip(NEXT) | instid1(VALU_DEP_2)
	v_add_co_u32 v9, vcc_lo, v10, v9
	v_add_co_ci_u32_e32 v10, vcc_lo, 0, v11, vcc_lo
	s_delay_alu instid0(VALU_DEP_2) | instskip(NEXT) | instid1(VALU_DEP_2)
	v_add_co_u32 v2, vcc_lo, v2, v9
	v_add_co_ci_u32_e32 v4, vcc_lo, v4, v10, vcc_lo
	s_delay_alu instid0(VALU_DEP_2) | instskip(SKIP_1) | instid1(VALU_DEP_3)
	v_mul_hi_u32 v9, s2, v2
	v_mul_lo_u32 v11, s22, v2
	v_mul_lo_u32 v10, s2, v4
	s_delay_alu instid0(VALU_DEP_1) | instskip(SKIP_1) | instid1(VALU_DEP_2)
	v_add_nc_u32_e32 v9, v9, v10
	v_mul_lo_u32 v10, s2, v2
	v_add_nc_u32_e32 v9, v9, v11
	s_delay_alu instid0(VALU_DEP_2) | instskip(NEXT) | instid1(VALU_DEP_2)
	v_mul_hi_u32 v11, v2, v10
	v_mul_lo_u32 v12, v2, v9
	v_mul_hi_u32 v13, v2, v9
	v_mul_hi_u32 v14, v4, v10
	v_mul_lo_u32 v10, v4, v10
	v_mul_hi_u32 v15, v4, v9
	v_mul_lo_u32 v9, v4, v9
	v_add_co_u32 v11, vcc_lo, v11, v12
	v_add_co_ci_u32_e32 v12, vcc_lo, 0, v13, vcc_lo
	s_delay_alu instid0(VALU_DEP_2) | instskip(NEXT) | instid1(VALU_DEP_2)
	v_add_co_u32 v10, vcc_lo, v11, v10
	v_add_co_ci_u32_e32 v10, vcc_lo, v12, v14, vcc_lo
	v_add_co_ci_u32_e32 v11, vcc_lo, 0, v15, vcc_lo
	s_delay_alu instid0(VALU_DEP_2) | instskip(NEXT) | instid1(VALU_DEP_2)
	v_add_co_u32 v9, vcc_lo, v10, v9
	v_add_co_ci_u32_e32 v10, vcc_lo, 0, v11, vcc_lo
	s_delay_alu instid0(VALU_DEP_2) | instskip(NEXT) | instid1(VALU_DEP_2)
	v_add_co_u32 v2, vcc_lo, v2, v9
	v_add_co_ci_u32_e32 v4, vcc_lo, v4, v10, vcc_lo
	s_delay_alu instid0(VALU_DEP_2) | instskip(SKIP_1) | instid1(VALU_DEP_3)
	v_mul_hi_u32 v15, v7, v2
	v_mad_u64_u32 v[11:12], null, v8, v2, 0
	v_mad_u64_u32 v[9:10], null, v7, v4, 0
	v_mad_u64_u32 v[13:14], null, v8, v4, 0
	s_delay_alu instid0(VALU_DEP_2) | instskip(NEXT) | instid1(VALU_DEP_3)
	v_add_co_u32 v2, vcc_lo, v15, v9
	v_add_co_ci_u32_e32 v4, vcc_lo, 0, v10, vcc_lo
	s_delay_alu instid0(VALU_DEP_2) | instskip(NEXT) | instid1(VALU_DEP_2)
	v_add_co_u32 v2, vcc_lo, v2, v11
	v_add_co_ci_u32_e32 v2, vcc_lo, v4, v12, vcc_lo
	v_add_co_ci_u32_e32 v4, vcc_lo, 0, v14, vcc_lo
	s_delay_alu instid0(VALU_DEP_2) | instskip(NEXT) | instid1(VALU_DEP_2)
	v_add_co_u32 v2, vcc_lo, v2, v13
	v_add_co_ci_u32_e32 v4, vcc_lo, 0, v4, vcc_lo
	s_delay_alu instid0(VALU_DEP_2) | instskip(SKIP_1) | instid1(VALU_DEP_3)
	v_mul_lo_u32 v11, s21, v2
	v_mad_u64_u32 v[9:10], null, s20, v2, 0
	v_mul_lo_u32 v12, s20, v4
	s_delay_alu instid0(VALU_DEP_2) | instskip(NEXT) | instid1(VALU_DEP_2)
	v_sub_co_u32 v9, vcc_lo, v7, v9
	v_add3_u32 v10, v10, v12, v11
	s_delay_alu instid0(VALU_DEP_1) | instskip(NEXT) | instid1(VALU_DEP_1)
	v_sub_nc_u32_e32 v11, v8, v10
	v_subrev_co_ci_u32_e64 v11, s2, s21, v11, vcc_lo
	v_add_co_u32 v12, s2, v2, 2
	s_delay_alu instid0(VALU_DEP_1) | instskip(SKIP_3) | instid1(VALU_DEP_3)
	v_add_co_ci_u32_e64 v13, s2, 0, v4, s2
	v_sub_co_u32 v14, s2, v9, s20
	v_sub_co_ci_u32_e32 v10, vcc_lo, v8, v10, vcc_lo
	v_subrev_co_ci_u32_e64 v11, s2, 0, v11, s2
	v_cmp_le_u32_e32 vcc_lo, s20, v14
	s_delay_alu instid0(VALU_DEP_3) | instskip(SKIP_1) | instid1(VALU_DEP_4)
	v_cmp_eq_u32_e64 s2, s21, v10
	v_cndmask_b32_e64 v14, 0, -1, vcc_lo
	v_cmp_le_u32_e32 vcc_lo, s21, v11
	v_cndmask_b32_e64 v15, 0, -1, vcc_lo
	v_cmp_le_u32_e32 vcc_lo, s20, v9
	;; [unrolled: 2-line block ×3, first 2 shown]
	v_cndmask_b32_e64 v16, 0, -1, vcc_lo
	v_cmp_eq_u32_e32 vcc_lo, s21, v11
	s_delay_alu instid0(VALU_DEP_2) | instskip(SKIP_3) | instid1(VALU_DEP_3)
	v_cndmask_b32_e64 v9, v16, v9, s2
	v_cndmask_b32_e32 v11, v15, v14, vcc_lo
	v_add_co_u32 v14, vcc_lo, v2, 1
	v_add_co_ci_u32_e32 v15, vcc_lo, 0, v4, vcc_lo
	v_cmp_ne_u32_e32 vcc_lo, 0, v11
	s_delay_alu instid0(VALU_DEP_2) | instskip(SKIP_1) | instid1(VALU_DEP_2)
	v_dual_cndmask_b32 v10, v15, v13 :: v_dual_cndmask_b32 v11, v14, v12
	v_cmp_ne_u32_e32 vcc_lo, 0, v9
	v_dual_cndmask_b32 v10, v4, v10 :: v_dual_cndmask_b32 v9, v2, v11
.LBB0_4:                                ;   in Loop: Header=BB0_2 Depth=1
	s_and_not1_saveexec_b32 s2, s3
	s_cbranch_execz .LBB0_6
; %bb.5:                                ;   in Loop: Header=BB0_2 Depth=1
	v_cvt_f32_u32_e32 v2, s20
	s_sub_i32 s3, 0, s20
	s_delay_alu instid0(VALU_DEP_1) | instskip(SKIP_2) | instid1(VALU_DEP_1)
	v_rcp_iflag_f32_e32 v2, v2
	s_waitcnt_depctr 0xfff
	v_mul_f32_e32 v2, 0x4f7ffffe, v2
	v_cvt_u32_f32_e32 v2, v2
	s_delay_alu instid0(VALU_DEP_1) | instskip(NEXT) | instid1(VALU_DEP_1)
	v_mul_lo_u32 v4, s3, v2
	v_mul_hi_u32 v4, v2, v4
	s_delay_alu instid0(VALU_DEP_1) | instskip(NEXT) | instid1(VALU_DEP_1)
	v_add_nc_u32_e32 v2, v2, v4
	v_mul_hi_u32 v2, v7, v2
	s_delay_alu instid0(VALU_DEP_1) | instskip(SKIP_1) | instid1(VALU_DEP_2)
	v_mul_lo_u32 v4, v2, s20
	v_add_nc_u32_e32 v9, 1, v2
	v_sub_nc_u32_e32 v4, v7, v4
	s_delay_alu instid0(VALU_DEP_1) | instskip(SKIP_1) | instid1(VALU_DEP_2)
	v_subrev_nc_u32_e32 v10, s20, v4
	v_cmp_le_u32_e32 vcc_lo, s20, v4
	v_cndmask_b32_e32 v4, v4, v10, vcc_lo
	v_mov_b32_e32 v10, v3
	v_cndmask_b32_e32 v2, v2, v9, vcc_lo
	s_delay_alu instid0(VALU_DEP_3) | instskip(NEXT) | instid1(VALU_DEP_2)
	v_cmp_le_u32_e32 vcc_lo, s20, v4
	v_add_nc_u32_e32 v9, 1, v2
	s_delay_alu instid0(VALU_DEP_1)
	v_cndmask_b32_e32 v9, v2, v9, vcc_lo
.LBB0_6:                                ;   in Loop: Header=BB0_2 Depth=1
	s_or_b32 exec_lo, exec_lo, s2
	s_load_b64 s[2:3], s[14:15], 0x0
	v_mul_lo_u32 v2, v10, s20
	s_delay_alu instid0(VALU_DEP_2)
	v_mul_lo_u32 v4, v9, s21
	v_mad_u64_u32 v[11:12], null, v9, s20, 0
	s_add_u32 s18, s18, 1
	s_addc_u32 s19, s19, 0
	s_add_u32 s14, s14, 8
	s_addc_u32 s15, s15, 0
	;; [unrolled: 2-line block ×3, first 2 shown]
	s_delay_alu instid0(VALU_DEP_1) | instskip(SKIP_1) | instid1(VALU_DEP_2)
	v_add3_u32 v2, v12, v4, v2
	v_sub_co_u32 v4, vcc_lo, v7, v11
	v_sub_co_ci_u32_e32 v2, vcc_lo, v8, v2, vcc_lo
	s_waitcnt lgkmcnt(0)
	s_delay_alu instid0(VALU_DEP_2) | instskip(NEXT) | instid1(VALU_DEP_2)
	v_mul_lo_u32 v11, s3, v4
	v_mul_lo_u32 v2, s2, v2
	v_mad_u64_u32 v[7:8], null, s2, v4, v[5:6]
	v_cmp_ge_u64_e64 s2, s[18:19], s[6:7]
	s_delay_alu instid0(VALU_DEP_1) | instskip(NEXT) | instid1(VALU_DEP_2)
	s_and_b32 vcc_lo, exec_lo, s2
	v_add3_u32 v6, v11, v8, v2
	s_delay_alu instid0(VALU_DEP_3)
	v_mov_b32_e32 v5, v7
	s_cbranch_vccnz .LBB0_8
; %bb.7:                                ;   in Loop: Header=BB0_2 Depth=1
	v_dual_mov_b32 v7, v9 :: v_dual_mov_b32 v8, v10
	s_branch .LBB0_2
.LBB0_8:
	s_lshl_b64 s[2:3], s[6:7], 3
	v_mul_hi_u32 v2, 0xcccccccd, v1
	s_add_u32 s2, s12, s2
	s_addc_u32 s3, s13, s3
	v_mul_hi_u32 v3, 0x1745d175, v0
	s_load_b64 s[2:3], s[2:3], 0x0
	s_load_b64 s[0:1], s[0:1], 0x20
                                        ; implicit-def: $vgpr80
	s_delay_alu instid0(VALU_DEP_2) | instskip(NEXT) | instid1(VALU_DEP_2)
	v_lshrrev_b32_e32 v4, 2, v2
	v_mul_u32_u24_e32 v7, 11, v3
	s_delay_alu instid0(VALU_DEP_2) | instskip(NEXT) | instid1(VALU_DEP_2)
	v_lshl_add_u32 v4, v4, 2, v4
	v_sub_nc_u32_e32 v74, v0, v7
	s_delay_alu instid0(VALU_DEP_2) | instskip(NEXT) | instid1(VALU_DEP_2)
	v_sub_nc_u32_e32 v0, v1, v4
	v_add_nc_u32_e32 v75, 11, v74
	s_waitcnt lgkmcnt(0)
	v_mul_lo_u32 v8, s2, v10
	v_mul_lo_u32 v11, s3, v9
	v_mad_u64_u32 v[2:3], null, s2, v9, v[5:6]
	v_cmp_gt_u64_e32 vcc_lo, s[0:1], v[9:10]
	v_cmp_le_u64_e64 s0, s[0:1], v[9:10]
	s_delay_alu instid0(VALU_DEP_3) | instskip(NEXT) | instid1(VALU_DEP_2)
	v_add3_u32 v3, v11, v3, v8
	s_and_saveexec_b32 s1, s0
	s_delay_alu instid0(SALU_CYCLE_1)
	s_xor_b32 s0, exec_lo, s1
; %bb.9:
	v_add_nc_u32_e32 v80, 11, v74
; %bb.10:
	s_or_saveexec_b32 s1, s0
	v_mul_u32_u24_e32 v1, 0xa5, v0
	v_lshlrev_b64 v[60:61], 4, v[2:3]
	v_lshlrev_b32_e32 v0, 4, v74
	v_add_nc_u32_e32 v76, 22, v74
	v_add_nc_u32_e32 v73, 33, v74
	v_lshlrev_b32_e32 v79, 4, v1
	v_add_nc_u32_e32 v71, 44, v74
	v_add_nc_u32_e32 v72, 55, v74
	v_add_nc_u32_e32 v70, 0x42, v74
	v_add_nc_u32_e32 v69, 0x4d, v74
	v_add_nc_u32_e32 v68, 0x58, v74
	v_add_nc_u32_e32 v67, 0x63, v74
	v_add_nc_u32_e32 v66, 0x6e, v74
	v_add_nc_u32_e32 v65, 0x79, v74
	v_add_nc_u32_e32 v64, 0x84, v74
	v_add_nc_u32_e32 v63, 0x8f, v74
	v_add_nc_u32_e32 v62, 0x9a, v74
	s_xor_b32 exec_lo, exec_lo, s1
	s_cbranch_execz .LBB0_12
; %bb.11:
	v_mad_u64_u32 v[1:2], null, s8, v74, 0
	v_mad_u64_u32 v[3:4], null, s8, v75, 0
	;; [unrolled: 1-line block ×5, first 2 shown]
	s_delay_alu instid0(VALU_DEP_4) | instskip(SKIP_3) | instid1(VALU_DEP_4)
	v_mad_u64_u32 v[5:6], null, s9, v74, v[2:3]
	v_add_co_u32 v57, s0, s10, v60
	v_mad_u64_u32 v[13:14], null, s8, v71, 0
	v_add_co_ci_u32_e64 v58, s0, s11, v61, s0
	v_mad_u64_u32 v[6:7], null, s9, v75, v[4:5]
	v_dual_mov_b32 v2, v5 :: v_dual_mov_b32 v5, v10
	v_mad_u64_u32 v[15:16], null, s8, v72, 0
	v_mad_u64_u32 v[25:26], null, s8, v70, 0
	s_delay_alu instid0(VALU_DEP_4) | instskip(NEXT) | instid1(VALU_DEP_4)
	v_mov_b32_e32 v4, v6
	v_lshlrev_b64 v[1:2], 4, v[1:2]
	v_mov_b32_e32 v6, v12
	v_mad_u64_u32 v[33:34], null, s8, v68, 0
	s_delay_alu instid0(VALU_DEP_4) | instskip(SKIP_2) | instid1(VALU_DEP_1)
	v_lshlrev_b64 v[3:4], 4, v[3:4]
	v_mad_u64_u32 v[41:42], null, s8, v66, 0
	v_add_co_u32 v1, s0, v57, v1
	v_add_co_ci_u32_e64 v2, s0, v58, v2, s0
	s_delay_alu instid0(VALU_DEP_4)
	v_add_co_u32 v17, s0, v57, v3
	v_mov_b32_e32 v3, v14
	v_mad_u64_u32 v[7:8], null, s9, v76, v[5:6]
	v_mov_b32_e32 v14, v16
	v_add_co_ci_u32_e64 v18, s0, v58, v4, s0
	v_mad_u64_u32 v[27:28], null, s8, v69, 0
	v_mad_u64_u32 v[35:36], null, s8, v67, 0
	;; [unrolled: 1-line block ×4, first 2 shown]
	v_mov_b32_e32 v10, v7
	s_clause 0x1
	global_load_b128 v[1:4], v[1:2], off
	global_load_b128 v[5:8], v[17:18], off
	v_mad_u64_u32 v[16:17], null, s9, v72, v[14:15]
	v_mov_b32_e32 v12, v19
	v_lshlrev_b64 v[9:10], 4, v[9:10]
	v_mov_b32_e32 v14, v20
	v_mov_b32_e32 v30, v36
	v_mad_u64_u32 v[45:46], null, s8, v64, 0
	v_lshlrev_b64 v[11:12], 4, v[11:12]
	v_add_co_u32 v9, s0, v57, v9
	v_lshlrev_b64 v[13:14], 4, v[13:14]
	v_add_co_ci_u32_e64 v10, s0, v58, v10, s0
	s_delay_alu instid0(VALU_DEP_4) | instskip(NEXT) | instid1(VALU_DEP_1)
	v_add_co_u32 v17, s0, v57, v11
	v_add_co_ci_u32_e64 v18, s0, v58, v12, s0
	s_delay_alu instid0(VALU_DEP_4) | instskip(NEXT) | instid1(VALU_DEP_1)
	v_add_co_u32 v19, s0, v57, v13
	v_add_co_ci_u32_e64 v20, s0, v58, v14, s0
	v_dual_mov_b32 v13, v26 :: v_dual_mov_b32 v14, v28
	v_lshlrev_b64 v[11:12], 4, v[15:16]
	v_mad_u64_u32 v[47:48], null, s8, v63, 0
	v_mov_b32_e32 v80, v75
	s_delay_alu instid0(VALU_DEP_4) | instskip(SKIP_3) | instid1(VALU_DEP_1)
	v_mad_u64_u32 v[23:24], null, s9, v70, v[13:14]
	v_mad_u64_u32 v[28:29], null, s9, v69, v[14:15]
	v_mov_b32_e32 v29, v34
	v_add_co_u32 v21, s0, v57, v11
	v_add_co_ci_u32_e64 v22, s0, v58, v12, s0
	s_delay_alu instid0(VALU_DEP_3)
	v_mad_u64_u32 v[31:32], null, s9, v68, v[29:30]
	v_mov_b32_e32 v26, v23
	v_lshlrev_b64 v[27:28], 4, v[27:28]
	s_clause 0x3
	global_load_b128 v[9:12], v[9:10], off
	global_load_b128 v[13:16], v[17:18], off
	;; [unrolled: 1-line block ×4, first 2 shown]
	v_lshlrev_b64 v[25:26], 4, v[25:26]
	v_mad_u64_u32 v[36:37], null, s9, v67, v[30:31]
	v_dual_mov_b32 v37, v42 :: v_dual_mov_b32 v34, v31
	s_delay_alu instid0(VALU_DEP_3) | instskip(NEXT) | instid1(VALU_DEP_1)
	v_add_co_u32 v25, s0, v57, v25
	v_add_co_ci_u32_e64 v26, s0, v58, v26, s0
	s_delay_alu instid0(VALU_DEP_3) | instskip(SKIP_3) | instid1(VALU_DEP_4)
	v_lshlrev_b64 v[33:34], 4, v[33:34]
	v_add_co_u32 v29, s0, v57, v27
	v_lshlrev_b64 v[35:36], 4, v[35:36]
	v_add_co_ci_u32_e64 v30, s0, v58, v28, s0
	v_add_co_u32 v33, s0, v57, v33
	v_mad_u64_u32 v[38:39], null, s9, v66, v[37:38]
	v_add_co_ci_u32_e64 v34, s0, v58, v34, s0
	v_add_co_u32 v39, s0, v57, v35
	s_delay_alu instid0(VALU_DEP_1)
	v_add_co_ci_u32_e64 v40, s0, v58, v36, s0
	v_dual_mov_b32 v35, v44 :: v_dual_mov_b32 v36, v46
	v_mov_b32_e32 v42, v38
	s_clause 0x1
	global_load_b128 v[25:28], v[25:26], off
	global_load_b128 v[29:32], v[29:30], off
	v_mad_u64_u32 v[49:50], null, s9, v65, v[35:36]
	v_mad_u64_u32 v[50:51], null, s9, v64, v[36:37]
	v_mad_u64_u32 v[51:52], null, s8, v62, 0
	v_lshlrev_b64 v[41:42], 4, v[41:42]
	s_clause 0x1
	global_load_b128 v[33:36], v[33:34], off
	global_load_b128 v[37:40], v[39:40], off
	v_mov_b32_e32 v44, v49
	v_mov_b32_e32 v46, v50
	v_mad_u64_u32 v[49:50], null, s9, v63, v[48:49]
	v_mov_b32_e32 v48, v52
	s_delay_alu instid0(VALU_DEP_4)
	v_lshlrev_b64 v[43:44], 4, v[43:44]
	v_add_co_u32 v41, s0, v57, v41
	v_lshlrev_b64 v[45:46], 4, v[45:46]
	v_add_co_ci_u32_e64 v42, s0, v58, v42, s0
	v_mad_u64_u32 v[52:53], null, s9, v62, v[48:49]
	v_mov_b32_e32 v48, v49
	v_add_co_u32 v49, s0, v57, v43
	s_delay_alu instid0(VALU_DEP_1) | instskip(NEXT) | instid1(VALU_DEP_3)
	v_add_co_ci_u32_e64 v50, s0, v58, v44, s0
	v_lshlrev_b64 v[43:44], 4, v[47:48]
	v_add_co_u32 v53, s0, v57, v45
	s_delay_alu instid0(VALU_DEP_1) | instskip(SKIP_1) | instid1(VALU_DEP_4)
	v_add_co_ci_u32_e64 v54, s0, v58, v46, s0
	v_lshlrev_b64 v[45:46], 4, v[51:52]
	v_add_co_u32 v55, s0, v57, v43
	s_delay_alu instid0(VALU_DEP_1) | instskip(NEXT) | instid1(VALU_DEP_3)
	v_add_co_ci_u32_e64 v56, s0, v58, v44, s0
	v_add_co_u32 v57, s0, v57, v45
	s_delay_alu instid0(VALU_DEP_1)
	v_add_co_ci_u32_e64 v58, s0, v58, v46, s0
	s_clause 0x4
	global_load_b128 v[41:44], v[41:42], off
	global_load_b128 v[45:48], v[49:50], off
	;; [unrolled: 1-line block ×5, first 2 shown]
	v_add3_u32 v57, 0, v79, v0
	s_waitcnt vmcnt(14)
	ds_store_b128 v57, v[1:4]
	s_waitcnt vmcnt(13)
	ds_store_b128 v57, v[5:8] offset:176
	s_waitcnt vmcnt(12)
	ds_store_b128 v57, v[9:12] offset:352
	;; [unrolled: 2-line block ×14, first 2 shown]
.LBB0_12:
	s_or_b32 exec_lo, exec_lo, s1
	v_add_nc_u32_e32 v1, 0, v0
	v_add_nc_u32_e32 v81, 0, v79
	s_waitcnt lgkmcnt(0)
	s_barrier
	buffer_gl0_inv
	v_add_nc_u32_e32 v78, v1, v79
	v_add_nc_u32_e32 v77, v81, v0
	s_mov_b32 s22, 0xf8bb580b
	s_mov_b32 s28, 0x8eee2c13
	;; [unrolled: 1-line block ×3, first 2 shown]
	ds_load_b128 v[56:59], v78 offset:240
	ds_load_b128 v[44:47], v77
	ds_load_b128 v[0:3], v78 offset:176
	ds_load_b128 v[8:11], v78 offset:416
	;; [unrolled: 1-line block ×13, first 2 shown]
	s_mov_b32 s18, 0xbb3a28a1
	s_mov_b32 s20, 0xfd768dbf
	;; [unrolled: 1-line block ×11, first 2 shown]
	s_waitcnt lgkmcnt(13)
	v_add_f64 v[4:5], v[44:45], v[56:57]
	v_add_f64 v[6:7], v[46:47], v[58:59]
	s_mov_b32 s16, 0x640f44db
	s_mov_b32 s13, 0xbfe4f49e
	;; [unrolled: 1-line block ×4, first 2 shown]
	s_waitcnt lgkmcnt(6)
	v_add_f64 v[114:115], v[58:59], -v[50:51]
	v_add_f64 v[58:59], v[58:59], v[50:51]
	s_waitcnt lgkmcnt(2)
	v_add_f64 v[120:121], v[96:97], -v[100:101]
	v_add_f64 v[122:123], v[96:97], v[100:101]
	s_mov_b32 s17, 0xbfc2375f
	s_mov_b32 s7, 0xbfeeb42a
	v_add_f64 v[116:117], v[84:85], -v[54:55]
	v_add_f64 v[136:137], v[56:57], v[48:49]
	v_add_f64 v[56:57], v[56:57], -v[48:49]
	v_add_f64 v[118:119], v[88:89], -v[92:93]
	s_waitcnt lgkmcnt(0)
	v_add_f64 v[130:131], v[102:103], v[106:107]
	v_add_f64 v[132:133], v[102:103], -v[106:107]
	s_mov_b32 s35, 0x3fed1bb4
	s_mov_b32 s1, 0x3fe82f19
	;; [unrolled: 1-line block ×10, first 2 shown]
	v_add_f64 v[134:135], v[82:83], v[52:53]
	v_add_f64 v[128:129], v[94:95], v[98:99]
	v_add_f64 v[124:125], v[104:105], -v[108:109]
	v_add_f64 v[126:127], v[104:105], v[108:109]
	v_mad_u32_u24 v81, 0xb0, v74, v81
	v_add_f64 v[4:5], v[4:5], v[82:83]
	v_add_f64 v[6:7], v[6:7], v[84:85]
	;; [unrolled: 1-line block ×3, first 2 shown]
	v_add_f64 v[82:83], v[82:83], -v[52:53]
	v_mul_f64 v[138:139], v[114:115], s[22:23]
	v_mul_f64 v[142:143], v[114:115], s[28:29]
	;; [unrolled: 1-line block ×26, first 2 shown]
	v_add_f64 v[110:111], v[4:5], v[86:87]
	v_add_f64 v[112:113], v[6:7], v[88:89]
	;; [unrolled: 1-line block ×3, first 2 shown]
	v_mul_f64 v[172:173], v[84:85], s[12:13]
	v_mul_f64 v[194:195], v[84:85], s[16:17]
	;; [unrolled: 1-line block ×3, first 2 shown]
	v_fma_f64 v[198:199], v[136:137], s[2:3], v[138:139]
	v_fma_f64 v[138:139], v[136:137], s[2:3], -v[138:139]
	v_fma_f64 v[202:203], v[136:137], s[14:15], v[142:143]
	v_fma_f64 v[142:143], v[136:137], s[14:15], -v[142:143]
	v_fma_f64 v[204:205], v[56:57], s[34:35], v[148:149]
	v_fma_f64 v[206:207], v[136:137], s[16:17], v[144:145]
	v_fma_f64 v[144:145], v[136:137], s[16:17], -v[144:145]
	v_fma_f64 v[210:211], v[136:137], s[12:13], v[146:147]
	;; [unrolled: 3-line block ×3, first 2 shown]
	v_fma_f64 v[114:115], v[136:137], s[6:7], -v[114:115]
	v_fma_f64 v[200:201], v[56:57], s[24:25], v[140:141]
	v_fma_f64 v[140:141], v[56:57], s[22:23], v[140:141]
	;; [unrolled: 1-line block ×8, first 2 shown]
	v_mul_f64 v[156:157], v[84:85], s[14:15]
	v_mul_f64 v[84:85], v[84:85], s[2:3]
	;; [unrolled: 1-line block ×3, first 2 shown]
	v_fma_f64 v[136:137], v[134:135], s[12:13], v[170:171]
	v_fma_f64 v[118:119], v[134:135], s[14:15], v[154:155]
	v_fma_f64 v[170:171], v[134:135], s[12:13], -v[170:171]
	v_fma_f64 v[222:223], v[134:135], s[6:7], v[182:183]
	v_fma_f64 v[182:183], v[134:135], s[6:7], -v[182:183]
	ds_load_b128 v[4:7], v78 offset:2576
	ds_load_b128 v[36:39], v78 offset:1136
	;; [unrolled: 1-line block ×7, first 2 shown]
	s_waitcnt lgkmcnt(0)
	s_barrier
	v_add_f64 v[110:111], v[110:111], v[94:95]
	v_add_f64 v[96:97], v[112:113], v[96:97]
	;; [unrolled: 1-line block ×3, first 2 shown]
	v_add_f64 v[86:87], v[86:87], -v[90:91]
	v_mul_f64 v[176:177], v[88:89], s[6:7]
	v_fma_f64 v[218:219], v[82:83], s[0:1], v[172:173]
	v_add_f64 v[198:199], v[44:45], v[198:199]
	v_add_f64 v[138:139], v[44:45], v[138:139]
	;; [unrolled: 1-line block ×12, first 2 shown]
	v_fma_f64 v[114:115], v[82:83], s[30:31], v[194:195]
	v_add_f64 v[94:95], v[94:95], -v[98:99]
	v_mul_f64 v[188:189], v[88:89], s[14:15]
	v_fma_f64 v[172:173], v[82:83], s[18:19], v[172:173]
	v_fma_f64 v[224:225], v[82:83], s[20:21], v[184:185]
	v_add_f64 v[200:201], v[46:47], v[200:201]
	v_add_f64 v[140:141], v[46:47], v[140:141]
	;; [unrolled: 1-line block ×8, first 2 shown]
	v_fma_f64 v[56:57], v[134:135], s[16:17], v[192:193]
	v_fma_f64 v[184:185], v[82:83], s[36:37], v[184:185]
	v_mul_f64 v[160:161], v[88:89], s[16:17]
	buffer_gl0_inv
	v_add_f64 v[102:103], v[110:111], v[102:103]
	v_add_f64 v[96:97], v[96:97], v[104:105]
	v_fma_f64 v[220:221], v[112:113], s[6:7], v[174:175]
	v_fma_f64 v[174:175], v[112:113], s[6:7], -v[174:175]
	v_fma_f64 v[226:227], v[112:113], s[14:15], v[186:187]
	v_fma_f64 v[186:187], v[112:113], s[14:15], -v[186:187]
	v_mul_f64 v[104:105], v[120:121], s[26:27]
	v_mul_f64 v[110:111], v[122:123], s[16:17]
	v_add_f64 v[136:137], v[136:137], v[202:203]
	v_add_f64 v[118:119], v[118:119], v[198:199]
	;; [unrolled: 1-line block ×3, first 2 shown]
	v_mul_f64 v[198:199], v[122:123], s[2:3]
	v_add_f64 v[142:143], v[170:171], v[142:143]
	v_add_f64 v[206:207], v[222:223], v[206:207]
	v_mul_f64 v[218:219], v[120:121], s[20:21]
	v_mul_f64 v[170:171], v[122:123], s[6:7]
	v_add_f64 v[144:145], v[182:183], v[144:145]
	v_mul_f64 v[120:121], v[120:121], s[34:35]
	v_add_f64 v[114:115], v[114:115], v[212:213]
	v_fma_f64 v[212:213], v[86:87], s[20:21], v[176:177]
	v_fma_f64 v[176:177], v[86:87], s[36:37], v[176:177]
	v_mul_f64 v[122:123], v[122:123], s[14:15]
	v_mul_f64 v[202:203], v[126:127], s[12:13]
	;; [unrolled: 1-line block ×4, first 2 shown]
	v_add_f64 v[148:149], v[172:173], v[148:149]
	v_add_f64 v[208:209], v[224:225], v[208:209]
	v_mul_f64 v[172:173], v[124:125], s[34:35]
	v_fma_f64 v[182:183], v[128:129], s[12:13], v[162:163]
	v_add_f64 v[56:57], v[56:57], v[210:211]
	v_add_f64 v[150:151], v[184:185], v[150:151]
	v_fma_f64 v[224:225], v[86:87], s[26:27], v[160:161]
	v_fma_f64 v[210:211], v[94:95], s[0:1], v[164:165]
	v_add_f64 v[102:103], v[102:103], v[106:107]
	v_add_f64 v[96:97], v[96:97], v[108:109]
	v_fma_f64 v[106:107], v[82:83], s[34:35], v[156:157]
	v_fma_f64 v[108:109], v[112:113], s[16:17], v[158:159]
	v_add_f64 v[136:137], v[220:221], v[136:137]
	v_fma_f64 v[220:221], v[132:133], s[22:23], v[180:181]
	v_fma_f64 v[184:185], v[94:95], s[24:25], v[198:199]
	v_add_f64 v[142:143], v[174:175], v[142:143]
	v_add_f64 v[174:175], v[226:227], v[206:207]
	;; [unrolled: 1-line block ×7, first 2 shown]
	v_fma_f64 v[100:101], v[112:113], s[2:3], v[196:197]
	v_fma_f64 v[102:103], v[134:135], s[16:17], -v[192:193]
	v_fma_f64 v[192:193], v[82:83], s[26:27], v[194:195]
	v_fma_f64 v[194:195], v[112:113], s[2:3], -v[196:197]
	;; [unrolled: 2-line block ×3, first 2 shown]
	v_fma_f64 v[134:135], v[134:135], s[14:15], -v[154:155]
	v_fma_f64 v[154:155], v[82:83], s[22:23], v[84:85]
	v_fma_f64 v[84:85], v[82:83], s[24:25], v[84:85]
	;; [unrolled: 1-line block ×4, first 2 shown]
	v_fma_f64 v[58:59], v[112:113], s[12:13], -v[58:59]
	v_fma_f64 v[112:113], v[112:113], s[16:17], -v[158:159]
	v_mul_f64 v[158:159], v[88:89], s[2:3]
	v_mul_f64 v[88:89], v[88:89], s[12:13]
	v_add_f64 v[106:107], v[106:107], v[200:201]
	v_mul_f64 v[200:201], v[124:125], s[18:19]
	v_mul_f64 v[124:125], v[124:125], s[30:31]
	v_add_f64 v[108:109], v[108:109], v[118:119]
	v_fma_f64 v[118:119], v[132:133], s[36:37], v[168:169]
	v_add_f64 v[90:91], v[98:99], v[90:91]
	v_add_f64 v[92:93], v[96:97], v[92:93]
	;; [unrolled: 1-line block ×5, first 2 shown]
	v_fma_f64 v[146:147], v[128:129], s[16:17], v[104:105]
	v_add_f64 v[196:197], v[196:197], v[214:215]
	v_fma_f64 v[214:215], v[86:87], s[28:29], v[188:189]
	v_add_f64 v[44:45], v[116:117], v[44:45]
	v_add_f64 v[154:155], v[154:155], v[216:217]
	;; [unrolled: 1-line block ×3, first 2 shown]
	v_fma_f64 v[188:189], v[86:87], s[34:35], v[188:189]
	v_add_f64 v[134:135], v[134:135], v[138:139]
	v_add_f64 v[82:83], v[82:83], v[140:141]
	v_fma_f64 v[192:193], v[94:95], s[30:31], v[110:111]
	v_fma_f64 v[216:217], v[86:87], s[24:25], v[158:159]
	;; [unrolled: 1-line block ×6, first 2 shown]
	v_fma_f64 v[104:105], v[128:129], s[16:17], -v[104:105]
	v_fma_f64 v[116:117], v[128:129], s[2:3], v[190:191]
	v_fma_f64 v[138:139], v[128:129], s[2:3], -v[190:191]
	v_fma_f64 v[160:161], v[128:129], s[6:7], v[218:219]
	v_fma_f64 v[190:191], v[94:95], s[36:37], v[170:171]
	;; [unrolled: 1-line block ×4, first 2 shown]
	v_fma_f64 v[198:199], v[128:129], s[6:7], -v[218:219]
	v_fma_f64 v[218:219], v[128:129], s[14:15], v[120:121]
	v_fma_f64 v[120:121], v[128:129], s[14:15], -v[120:121]
	v_fma_f64 v[128:129], v[128:129], s[12:13], -v[162:163]
	v_fma_f64 v[162:163], v[94:95], s[28:29], v[122:123]
	v_fma_f64 v[122:123], v[94:95], s[34:35], v[122:123]
	;; [unrolled: 1-line block ×3, first 2 shown]
	v_add_f64 v[106:107], v[224:225], v[106:107]
	v_fma_f64 v[94:95], v[94:95], s[18:19], v[164:165]
	v_fma_f64 v[224:225], v[130:131], s[2:3], v[178:179]
	;; [unrolled: 1-line block ×6, first 2 shown]
	v_add_f64 v[102:103], v[194:195], v[102:103]
	v_add_f64 v[108:109], v[182:183], v[108:109]
	;; [unrolled: 1-line block ×6, first 2 shown]
	v_fma_f64 v[112:113], v[130:131], s[12:13], v[200:201]
	v_add_f64 v[146:147], v[192:193], v[204:205]
	v_add_f64 v[100:101], v[216:217], v[114:115]
	;; [unrolled: 1-line block ×8, first 2 shown]
	v_fma_f64 v[134:135], v[132:133], s[0:1], v[202:203]
	v_add_f64 v[104:105], v[104:105], v[142:143]
	v_add_f64 v[116:117], v[116:117], v[174:175]
	v_fma_f64 v[154:155], v[130:131], s[14:15], v[172:173]
	v_fma_f64 v[156:157], v[132:133], s[28:29], v[222:223]
	v_add_f64 v[138:139], v[138:139], v[144:145]
	v_add_f64 v[144:145], v[160:161], v[56:57]
	v_fma_f64 v[86:87], v[130:131], s[2:3], -v[178:179]
	v_fma_f64 v[178:179], v[130:131], s[16:17], v[124:125]
	v_add_f64 v[110:111], v[110:111], v[148:149]
	v_fma_f64 v[158:159], v[130:131], s[14:15], -v[172:173]
	v_fma_f64 v[124:125], v[130:131], s[16:17], -v[124:125]
	v_fma_f64 v[172:173], v[132:133], s[34:35], v[222:223]
	v_fma_f64 v[150:151], v[130:131], s[12:13], -v[200:201]
	v_fma_f64 v[152:153], v[132:133], s[18:19], v[202:203]
	v_add_f64 v[106:107], v[210:211], v[106:107]
	v_fma_f64 v[130:131], v[130:131], s[6:7], -v[166:167]
	v_fma_f64 v[132:133], v[132:133], s[20:21], v[168:169]
	s_mov_b32 s1, exec_lo
	v_add_f64 v[102:103], v[198:199], v[102:103]
	v_add_f64 v[142:143], v[184:185], v[176:177]
	;; [unrolled: 1-line block ×35, first 2 shown]
	ds_store_b128 v81, v[52:55] offset:32
	ds_store_b128 v81, v[82:85] offset:48
	;; [unrolled: 1-line block ×8, first 2 shown]
	ds_store_b128 v81, v[48:51]
	ds_store_b128 v81, v[44:47] offset:16
	ds_store_b128 v81, v[106:109] offset:160
	v_cmpx_gt_u32_e32 4, v74
	s_cbranch_execz .LBB0_14
; %bb.13:
	v_add_f64 v[44:45], v[2:3], v[10:11]
	v_add_f64 v[46:47], v[0:1], v[8:9]
	v_add_f64 v[56:57], v[8:9], -v[4:5]
	v_add_f64 v[87:88], v[10:11], -v[6:7]
	;; [unrolled: 1-line block ×4, first 2 shown]
	v_add_f64 v[93:94], v[42:43], v[22:23]
	v_add_f64 v[99:100], v[40:41], v[20:21]
	v_add_f64 v[54:55], v[12:13], -v[16:17]
	v_add_f64 v[85:86], v[14:15], -v[18:19]
	v_add_f64 v[10:11], v[10:11], v[6:7]
	v_add_f64 v[8:9], v[8:9], v[4:5]
	v_add_f64 v[50:51], v[36:37], -v[24:25]
	v_add_f64 v[81:82], v[38:39], -v[26:27]
	;; [unrolled: 4-line block ×3, first 2 shown]
	v_add_f64 v[89:90], v[34:35], v[30:31]
	v_add_f64 v[95:96], v[32:33], v[28:29]
	;; [unrolled: 1-line block ×4, first 2 shown]
	v_mul_f64 v[109:110], v[56:57], s[20:21]
	v_mul_f64 v[119:120], v[87:88], s[20:21]
	v_mul_f64 v[133:134], v[87:88], s[18:19]
	v_mul_f64 v[139:140], v[56:57], s[30:31]
	v_mul_f64 v[147:148], v[56:57], s[28:29]
	v_mul_f64 v[149:150], v[87:88], s[28:29]
	v_mul_f64 v[141:142], v[87:88], s[30:31]
	v_mul_f64 v[87:88], v[87:88], s[22:23]
	v_add_f64 v[14:15], v[14:15], v[18:19]
	v_add_f64 v[12:13], v[12:13], v[16:17]
	v_mul_f64 v[107:108], v[54:55], s[24:25]
	v_mul_f64 v[117:118], v[85:86], s[24:25]
	;; [unrolled: 1-line block ×26, first 2 shown]
	v_add_f64 v[42:43], v[44:45], v[42:43]
	v_add_f64 v[40:41], v[46:47], v[40:41]
	v_mul_f64 v[46:47], v[56:57], s[18:19]
	v_mul_f64 v[56:57], v[56:57], s[22:23]
	;; [unrolled: 1-line block ×4, first 2 shown]
	v_fma_f64 v[177:178], v[10:11], s[6:7], v[109:110]
	v_fma_f64 v[183:184], v[8:9], s[6:7], -v[119:120]
	v_fma_f64 v[189:190], v[8:9], s[12:13], -v[133:134]
	v_fma_f64 v[133:134], v[8:9], s[12:13], v[133:134]
	v_fma_f64 v[191:192], v[10:11], s[16:17], v[139:140]
	;; [unrolled: 1-line block ×3, first 2 shown]
	v_fma_f64 v[197:198], v[8:9], s[14:15], -v[149:150]
	v_fma_f64 v[147:148], v[10:11], s[14:15], -v[147:148]
	v_fma_f64 v[149:150], v[8:9], s[14:15], v[149:150]
	v_fma_f64 v[109:110], v[10:11], s[6:7], -v[109:110]
	v_fma_f64 v[119:120], v[8:9], s[6:7], v[119:120]
	v_fma_f64 v[193:194], v[8:9], s[16:17], -v[141:142]
	v_fma_f64 v[139:140], v[10:11], s[16:17], -v[139:140]
	v_fma_f64 v[141:142], v[8:9], s[16:17], v[141:142]
	v_fma_f64 v[201:202], v[8:9], s[2:3], -v[87:88]
	v_fma_f64 v[8:9], v[8:9], s[2:3], v[87:88]
	;; [unrolled: 2-line block ×3, first 2 shown]
	v_fma_f64 v[203:204], v[12:13], s[16:17], -v[135:136]
	v_fma_f64 v[207:208], v[12:13], s[6:7], -v[155:156]
	v_fma_f64 v[155:156], v[12:13], s[6:7], v[155:156]
	v_fma_f64 v[209:210], v[14:15], s[12:13], v[159:160]
	v_fma_f64 v[159:160], v[14:15], s[12:13], -v[159:160]
	v_fma_f64 v[211:212], v[12:13], s[12:13], v[163:164]
	v_fma_f64 v[163:164], v[12:13], s[12:13], -v[163:164]
	;; [unrolled: 2-line block ×3, first 2 shown]
	v_fma_f64 v[125:126], v[93:94], s[2:3], -v[125:126]
	v_fma_f64 v[131:132], v[99:100], s[2:3], v[131:132]
	v_fma_f64 v[179:180], v[99:100], s[12:13], -v[115:116]
	v_fma_f64 v[205:206], v[99:100], s[14:15], -v[153:154]
	v_fma_f64 v[153:154], v[99:100], s[14:15], v[153:154]
	v_add_f64 v[38:39], v[42:43], v[38:39]
	v_add_f64 v[36:37], v[40:41], v[36:37]
	v_fma_f64 v[187:188], v[10:11], s[12:13], v[46:47]
	v_fma_f64 v[46:47], v[10:11], s[12:13], -v[46:47]
	v_fma_f64 v[199:200], v[10:11], s[2:3], v[56:57]
	v_fma_f64 v[10:11], v[10:11], s[2:3], -v[56:57]
	v_mul_f64 v[40:41], v[81:82], s[18:19]
	v_fma_f64 v[81:82], v[14:15], s[2:3], v[107:108]
	v_fma_f64 v[107:108], v[14:15], s[2:3], -v[107:108]
	v_fma_f64 v[56:57], v[14:15], s[16:17], v[44:45]
	v_fma_f64 v[44:45], v[14:15], s[16:17], -v[44:45]
	v_fma_f64 v[213:214], v[14:15], s[14:15], v[54:55]
	v_add_f64 v[133:134], v[0:1], v[133:134]
	v_add_f64 v[147:148], v[2:3], v[147:148]
	;; [unrolled: 1-line block ×5, first 2 shown]
	v_fma_f64 v[42:43], v[93:94], s[12:13], v[105:106]
	v_add_f64 v[139:140], v[2:3], v[139:140]
	v_add_f64 v[141:142], v[0:1], v[141:142]
	v_fma_f64 v[105:106], v[93:94], s[12:13], -v[105:106]
	v_add_f64 v[8:9], v[0:1], v[8:9]
	v_mul_f64 v[50:51], v[50:51], s[18:19]
	v_fma_f64 v[115:116], v[99:100], s[12:13], v[115:116]
	v_mul_f64 v[127:128], v[58:59], s[34:35]
	v_mul_f64 v[169:170], v[48:49], s[24:25]
	;; [unrolled: 1-line block ×3, first 2 shown]
	v_fma_f64 v[215:216], v[97:98], s[14:15], -v[113:114]
	v_fma_f64 v[113:114], v[97:98], s[14:15], v[113:114]
	v_mul_f64 v[121:122], v[48:49], s[34:35]
	v_mul_f64 v[137:138], v[48:49], s[18:19]
	v_mul_f64 v[165:166], v[58:59], s[18:19]
	v_mul_f64 v[101:102], v[48:49], s[30:31]
	v_mul_f64 v[111:112], v[58:59], s[30:31]
	v_mul_f64 v[48:49], v[48:49], s[20:21]
	v_mul_f64 v[58:59], v[58:59], s[20:21]
	v_add_f64 v[34:35], v[38:39], v[34:35]
	v_add_f64 v[32:33], v[36:37], v[32:33]
	v_fma_f64 v[36:37], v[12:13], s[16:17], v[135:136]
	v_fma_f64 v[135:136], v[14:15], s[6:7], v[151:152]
	v_fma_f64 v[151:152], v[14:15], s[6:7], -v[151:152]
	v_fma_f64 v[14:15], v[14:15], s[14:15], -v[54:55]
	v_fma_f64 v[54:55], v[12:13], s[14:15], -v[85:86]
	v_fma_f64 v[12:13], v[12:13], s[14:15], v[85:86]
	v_add_f64 v[85:86], v[2:3], v[177:178]
	v_add_f64 v[177:178], v[0:1], v[183:184]
	;; [unrolled: 1-line block ×12, first 2 shown]
	v_fma_f64 v[38:39], v[93:94], s[14:15], v[145:146]
	v_fma_f64 v[145:146], v[93:94], s[14:15], -v[145:146]
	v_add_f64 v[107:108], v[107:108], v[109:110]
	v_add_f64 v[109:110], v[117:118], v[119:120]
	v_fma_f64 v[199:200], v[91:92], s[14:15], v[103:104]
	v_fma_f64 v[103:104], v[91:92], s[14:15], -v[103:104]
	v_fma_f64 v[201:202], v[95:96], s[16:17], -v[111:112]
	v_fma_f64 v[111:112], v[95:96], s[16:17], v[111:112]
	v_add_f64 v[10:11], v[34:35], v[30:31]
	v_add_f64 v[28:29], v[32:33], v[28:29]
	v_fma_f64 v[30:31], v[93:94], s[6:7], v[157:158]
	v_fma_f64 v[34:35], v[93:94], s[6:7], -v[157:158]
	v_fma_f64 v[157:158], v[99:100], s[6:7], v[161:162]
	v_add_f64 v[36:37], v[36:37], v[133:134]
	v_add_f64 v[133:134], v[159:160], v[147:148]
	;; [unrolled: 1-line block ×12, first 2 shown]
	v_fma_f64 v[32:33], v[99:100], s[6:7], -v[161:162]
	v_add_f64 v[147:148], v[209:210], v[193:194]
	v_add_f64 v[149:150], v[163:164], v[195:196]
	v_fma_f64 v[161:162], v[93:94], s[16:17], v[52:53]
	v_fma_f64 v[52:53], v[93:94], s[16:17], -v[52:53]
	v_fma_f64 v[93:94], v[99:100], s[16:17], -v[83:84]
	v_fma_f64 v[83:84], v[99:100], s[16:17], v[83:84]
	v_add_f64 v[2:3], v[14:15], v[2:3]
	v_add_f64 v[8:9], v[12:13], v[8:9]
	;; [unrolled: 1-line block ×4, first 2 shown]
	v_fma_f64 v[14:15], v[91:92], s[6:7], v[123:124]
	v_fma_f64 v[54:55], v[91:92], s[2:3], v[143:144]
	v_fma_f64 v[159:160], v[97:98], s[16:17], -v[175:176]
	v_fma_f64 v[163:164], v[91:92], s[16:17], -v[171:172]
	v_fma_f64 v[155:156], v[91:92], s[16:17], v[171:172]
	v_fma_f64 v[171:172], v[91:92], s[12:13], v[50:51]
	v_fma_f64 v[50:51], v[91:92], s[12:13], -v[50:51]
	v_fma_f64 v[99:100], v[89:90], s[16:17], v[101:102]
	v_fma_f64 v[101:102], v[89:90], s[16:17], -v[101:102]
	v_add_f64 v[10:11], v[10:11], v[26:27]
	v_add_f64 v[12:13], v[28:29], v[24:25]
	v_fma_f64 v[24:25], v[97:98], s[6:7], -v[129:130]
	v_fma_f64 v[26:27], v[91:92], s[6:7], -v[123:124]
	v_fma_f64 v[28:29], v[97:98], s[6:7], v[129:130]
	v_fma_f64 v[123:124], v[97:98], s[2:3], -v[167:168]
	v_fma_f64 v[129:130], v[91:92], s[2:3], -v[143:144]
	v_fma_f64 v[143:144], v[97:98], s[2:3], v[167:168]
	v_fma_f64 v[167:168], v[97:98], s[16:17], v[175:176]
	v_fma_f64 v[175:176], v[97:98], s[12:13], -v[40:41]
	v_fma_f64 v[40:41], v[97:98], s[12:13], v[40:41]
	v_add_f64 v[36:37], v[131:132], v[36:37]
	v_add_f64 v[44:45], v[125:126], v[44:45]
	;; [unrolled: 1-line block ×20, first 2 shown]
	v_fma_f64 v[83:84], v[95:96], s[14:15], v[127:128]
	v_fma_f64 v[131:132], v[95:96], s[2:3], v[173:174]
	v_fma_f64 v[52:53], v[89:90], s[14:15], -v[121:122]
	v_fma_f64 v[117:118], v[89:90], s[12:13], -v[137:138]
	v_fma_f64 v[119:120], v[95:96], s[12:13], v[165:166]
	v_fma_f64 v[93:94], v[89:90], s[12:13], v[137:138]
	;; [unrolled: 1-line block ×3, first 2 shown]
	v_add_f64 v[10:11], v[10:11], v[22:23]
	v_add_f64 v[12:13], v[12:13], v[20:21]
	v_fma_f64 v[22:23], v[95:96], s[14:15], -v[127:128]
	v_fma_f64 v[127:128], v[89:90], s[2:3], -v[169:170]
	v_fma_f64 v[20:21], v[89:90], s[14:15], v[121:122]
	v_fma_f64 v[121:122], v[89:90], s[2:3], v[169:170]
	v_fma_f64 v[48:49], v[89:90], s[6:7], -v[48:49]
	v_fma_f64 v[115:116], v[95:96], s[12:13], -v[165:166]
	v_fma_f64 v[125:126], v[95:96], s[2:3], -v[173:174]
	v_fma_f64 v[135:136], v[95:96], s[6:7], -v[58:59]
	v_fma_f64 v[58:59], v[95:96], s[6:7], v[58:59]
	v_add_f64 v[28:29], v[28:29], v[36:37]
	v_add_f64 v[26:27], v[26:27], v[44:45]
	;; [unrolled: 1-line block ×42, first 2 shown]
	v_mul_i32_i24_e32 v44, 0xb0, v80
	s_delay_alu instid0(VALU_DEP_1)
	v_add3_u32 v44, 0, v44, v79
	v_add_f64 v[6:7], v[91:92], v[6:7]
	v_add_f64 v[4:5], v[95:96], v[4:5]
	ds_store_b128 v44, v[28:31] offset:32
	ds_store_b128 v44, v[24:27] offset:48
	;; [unrolled: 1-line block ×9, first 2 shown]
	ds_store_b128 v44, v[4:7]
	ds_store_b128 v44, v[36:39] offset:160
.LBB0_14:
	s_or_b32 exec_lo, exec_lo, s1
	v_dual_mov_b32 v9, 0 :: v_dual_and_b32 v0, 0xff, v76
	v_lshlrev_b32_e32 v8, 2, v74
	s_waitcnt lgkmcnt(0)
	s_barrier
	s_delay_alu instid0(VALU_DEP_2)
	v_mul_lo_u16 v0, 0x75, v0
	buffer_gl0_inv
	s_mov_b32 s6, 0x134454ff
	s_mov_b32 s7, 0xbfee6f0e
	;; [unrolled: 1-line block ×3, first 2 shown]
	v_lshrrev_b16 v0, 8, v0
	s_mov_b32 s12, s6
	s_mov_b32 s3, 0x3fe2cf23
	s_delay_alu instid0(VALU_DEP_1) | instskip(NEXT) | instid1(VALU_DEP_1)
	v_sub_nc_u16 v1, v76, v0
	v_lshrrev_b16 v1, 1, v1
	s_delay_alu instid0(VALU_DEP_1) | instskip(NEXT) | instid1(VALU_DEP_1)
	v_and_b32_e32 v1, 0x7f, v1
	v_add_nc_u16 v2, v1, v0
	v_lshlrev_b64 v[0:1], 4, v[8:9]
	s_delay_alu instid0(VALU_DEP_2) | instskip(NEXT) | instid1(VALU_DEP_2)
	v_lshrrev_b16 v2, 3, v2
	v_add_co_u32 v14, s0, s4, v0
	s_delay_alu instid0(VALU_DEP_1) | instskip(NEXT) | instid1(VALU_DEP_3)
	v_add_co_ci_u32_e64 v15, s0, s5, v1, s0
	v_mul_lo_u16 v8, v2, 11
	s_mov_b32 s0, 0x4755a5e
	s_clause 0x3
	global_load_b128 v[0:3], v[14:15], off offset:16
	global_load_b128 v[4:7], v[14:15], off
	global_load_b128 v[10:13], v[14:15], off offset:32
	global_load_b128 v[20:23], v[14:15], off offset:48
	v_sub_nc_u16 v8, v76, v8
	s_mov_b32 s1, 0xbfe2cf23
	s_mov_b32 s2, s0
	s_delay_alu instid0(VALU_DEP_1) | instskip(NEXT) | instid1(VALU_DEP_1)
	v_and_b32_e32 v59, 0xff, v8
	v_lshlrev_b32_e32 v8, 6, v59
	v_lshlrev_b32_e32 v59, 4, v59
	s_clause 0x3
	global_load_b128 v[24:27], v8, s[4:5]
	global_load_b128 v[36:39], v8, s[4:5] offset:16
	global_load_b128 v[81:84], v8, s[4:5] offset:32
	global_load_b128 v[85:88], v8, s[4:5] offset:48
	ds_load_b128 v[14:17], v78 offset:528
	ds_load_b128 v[28:31], v78 offset:1056
	;; [unrolled: 1-line block ×12, first 2 shown]
	v_lshlrev_b32_e32 v8, 4, v80
	s_delay_alu instid0(VALU_DEP_1)
	v_add3_u32 v58, 0, v8, v79
	v_lshlrev_b32_e32 v8, 1, v74
	s_waitcnt vmcnt(7) lgkmcnt(10)
	v_mul_f64 v[48:49], v[30:31], v[2:3]
	v_mul_f64 v[119:120], v[28:29], v[2:3]
	s_waitcnt vmcnt(5) lgkmcnt(9)
	v_mul_f64 v[50:51], v[34:35], v[12:13]
	v_mul_f64 v[121:122], v[32:33], v[12:13]
	;; [unrolled: 1-line block ×4, first 2 shown]
	s_waitcnt vmcnt(4) lgkmcnt(8)
	v_mul_f64 v[117:118], v[42:43], v[22:23]
	v_mul_f64 v[123:124], v[40:41], v[22:23]
	s_waitcnt lgkmcnt(7)
	v_mul_f64 v[125:126], v[46:47], v[6:7]
	s_waitcnt lgkmcnt(6)
	;; [unrolled: 2-line block ×3, first 2 shown]
	v_mul_f64 v[129:130], v[95:96], v[12:13]
	v_mul_f64 v[2:3], v[89:90], v[2:3]
	;; [unrolled: 1-line block ×4, first 2 shown]
	s_waitcnt lgkmcnt(4)
	v_mul_f64 v[131:132], v[99:100], v[22:23]
	v_mul_f64 v[22:23], v[97:98], v[22:23]
	s_waitcnt vmcnt(3) lgkmcnt(3)
	v_mul_f64 v[133:134], v[103:104], v[26:27]
	v_mul_f64 v[135:136], v[101:102], v[26:27]
	s_waitcnt vmcnt(2) lgkmcnt(2)
	v_mul_f64 v[137:138], v[107:108], v[38:39]
	s_waitcnt vmcnt(1) lgkmcnt(1)
	v_mul_f64 v[139:140], v[111:112], v[83:84]
	v_mul_f64 v[141:142], v[105:106], v[38:39]
	s_waitcnt vmcnt(0) lgkmcnt(0)
	v_mul_f64 v[143:144], v[115:116], v[87:88]
	v_mul_f64 v[83:84], v[109:110], v[83:84]
	;; [unrolled: 1-line block ×3, first 2 shown]
	v_fma_f64 v[48:49], v[28:29], v[0:1], v[48:49]
	v_fma_f64 v[38:39], v[30:31], v[0:1], -v[119:120]
	v_fma_f64 v[26:27], v[32:33], v[10:11], v[50:51]
	v_fma_f64 v[28:29], v[34:35], v[10:11], -v[121:122]
	;; [unrolled: 2-line block ×4, first 2 shown]
	v_fma_f64 v[52:53], v[44:45], v[4:5], v[125:126]
	v_fma_f64 v[40:41], v[89:90], v[0:1], v[127:128]
	;; [unrolled: 1-line block ×3, first 2 shown]
	v_fma_f64 v[44:45], v[91:92], v[0:1], -v[2:3]
	v_fma_f64 v[32:33], v[95:96], v[10:11], -v[12:13]
	;; [unrolled: 1-line block ×3, first 2 shown]
	v_fma_f64 v[18:19], v[97:98], v[20:21], v[131:132]
	v_fma_f64 v[20:21], v[99:100], v[20:21], -v[22:23]
	v_fma_f64 v[46:47], v[101:102], v[24:25], v[133:134]
	v_fma_f64 v[42:43], v[103:104], v[24:25], -v[135:136]
	v_fma_f64 v[34:35], v[105:106], v[36:37], v[137:138]
	v_fma_f64 v[22:23], v[109:110], v[81:82], v[139:140]
	v_fma_f64 v[36:37], v[107:108], v[36:37], -v[141:142]
	v_fma_f64 v[10:11], v[113:114], v[85:86], v[143:144]
	v_fma_f64 v[24:25], v[111:112], v[81:82], -v[83:84]
	v_fma_f64 v[12:13], v[115:116], v[85:86], -v[87:88]
	ds_load_b128 v[4:7], v77
	ds_load_b128 v[81:84], v58
	ds_load_b128 v[0:3], v78 offset:352
	s_waitcnt lgkmcnt(0)
	s_barrier
	buffer_gl0_inv
	v_add_f64 v[85:86], v[48:49], v[26:27]
	v_add_f64 v[89:90], v[38:39], v[28:29]
	v_add_f64 v[99:100], v[56:57], -v[48:49]
	v_add_f64 v[111:112], v[48:49], -v[56:57]
	v_add_f64 v[87:88], v[56:57], v[14:15]
	v_add_f64 v[93:94], v[54:55], v[16:17]
	;; [unrolled: 1-line block ×3, first 2 shown]
	v_add_f64 v[103:104], v[14:15], -v[26:27]
	v_add_f64 v[97:98], v[40:41], v[30:31]
	v_add_f64 v[115:116], v[6:7], v[54:55]
	;; [unrolled: 1-line block ×3, first 2 shown]
	v_add_f64 v[95:96], v[54:55], -v[16:17]
	v_add_f64 v[101:102], v[52:53], v[18:19]
	v_add_f64 v[107:108], v[50:51], v[20:21]
	v_add_f64 v[113:114], v[26:27], -v[14:15]
	v_add_f64 v[56:57], v[56:57], -v[14:15]
	;; [unrolled: 1-line block ×3, first 2 shown]
	v_add_f64 v[117:118], v[34:35], v[22:23]
	v_add_f64 v[129:130], v[16:17], -v[28:29]
	v_add_f64 v[119:120], v[46:47], v[10:11]
	v_add_f64 v[123:124], v[36:37], v[24:25]
	v_add_f64 v[125:126], v[42:43], v[12:13]
	v_add_f64 v[135:136], v[83:84], v[50:51]
	v_add_f64 v[109:110], v[38:39], -v[28:29]
	v_add_f64 v[121:122], v[48:49], -v[26:27]
	v_add_f64 v[133:134], v[81:82], v[52:53]
	v_add_f64 v[137:138], v[50:51], -v[20:21]
	v_add_f64 v[141:142], v[52:53], -v[40:41]
	;; [unrolled: 1-line block ×12, first 2 shown]
	v_fma_f64 v[85:86], v[85:86], -0.5, v[4:5]
	v_fma_f64 v[89:90], v[89:90], -0.5, v[6:7]
	v_add_f64 v[147:148], v[30:31], -v[18:19]
	v_fma_f64 v[4:5], v[87:88], -0.5, v[4:5]
	v_fma_f64 v[6:7], v[93:94], -0.5, v[6:7]
	v_add_f64 v[48:49], v[91:92], v[48:49]
	v_add_f64 v[91:92], v[99:100], v[103:104]
	v_fma_f64 v[97:98], v[97:98], -0.5, v[81:82]
	v_add_f64 v[103:104], v[42:43], -v[12:13]
	v_fma_f64 v[99:100], v[105:106], -0.5, v[83:84]
	v_add_f64 v[105:106], v[36:37], -v[24:25]
	v_fma_f64 v[81:82], v[101:102], -0.5, v[81:82]
	v_fma_f64 v[83:84], v[107:108], -0.5, v[83:84]
	v_add_f64 v[101:102], v[0:1], v[46:47]
	v_add_f64 v[107:108], v[2:3], v[42:43]
	;; [unrolled: 1-line block ×3, first 2 shown]
	v_fma_f64 v[117:118], v[117:118], -0.5, v[0:1]
	v_add_f64 v[93:94], v[32:33], -v[20:21]
	v_fma_f64 v[0:1], v[119:120], -0.5, v[0:1]
	v_fma_f64 v[123:124], v[123:124], -0.5, v[2:3]
	v_add_f64 v[119:120], v[34:35], -v[22:23]
	v_fma_f64 v[2:3], v[125:126], -0.5, v[2:3]
	v_add_f64 v[111:112], v[111:112], v[113:114]
	v_add_f64 v[113:114], v[127:128], v[129:130]
	;; [unrolled: 1-line block ×3, first 2 shown]
	v_add_f64 v[115:116], v[46:47], -v[34:35]
	v_add_f64 v[46:47], v[34:35], -v[46:47]
	;; [unrolled: 1-line block ×3, first 2 shown]
	v_add_f64 v[40:41], v[133:134], v[40:41]
	v_add_f64 v[125:126], v[10:11], -v[22:23]
	v_add_f64 v[129:130], v[42:43], -v[36:37]
	;; [unrolled: 1-line block ×5, first 2 shown]
	v_add_f64 v[54:55], v[54:55], v[131:132]
	v_add_f64 v[131:132], v[12:13], -v[24:25]
	v_add_f64 v[141:142], v[141:142], v[143:144]
	v_fma_f64 v[135:136], v[95:96], s[6:7], v[85:86]
	v_fma_f64 v[157:158], v[56:57], s[12:13], v[89:90]
	;; [unrolled: 1-line block ×16, first 2 shown]
	v_add_f64 v[34:35], v[101:102], v[34:35]
	v_add_f64 v[36:37], v[107:108], v[36:37]
	v_fma_f64 v[101:102], v[103:104], s[6:7], v[117:118]
	v_fma_f64 v[107:108], v[103:104], s[12:13], v[117:118]
	;; [unrolled: 1-line block ×8, first 2 shown]
	v_add_f64 v[26:27], v[48:49], v[26:27]
	v_add_f64 v[28:29], v[38:39], v[28:29]
	;; [unrolled: 1-line block ×11, first 2 shown]
	v_fma_f64 v[38:39], v[109:110], s[0:1], v[135:136]
	v_fma_f64 v[46:47], v[121:122], s[2:3], v[157:158]
	v_fma_f64 v[40:41], v[109:110], s[2:3], v[85:86]
	v_fma_f64 v[85:86], v[121:122], s[0:1], v[89:90]
	v_fma_f64 v[42:43], v[95:96], s[0:1], v[155:156]
	v_fma_f64 v[89:90], v[56:57], s[2:3], v[159:160]
	v_fma_f64 v[44:45], v[95:96], s[2:3], v[4:5]
	v_fma_f64 v[56:57], v[56:57], s[0:1], v[6:7]
	v_fma_f64 v[95:96], v[139:140], s[0:1], v[161:162]
	v_fma_f64 v[97:98], v[139:140], s[2:3], v[97:98]
	v_fma_f64 v[121:122], v[149:150], s[2:3], v[165:166]
	v_fma_f64 v[99:100], v[149:150], s[0:1], v[99:100]
	v_fma_f64 v[109:110], v[137:138], s[0:1], v[163:164]
	v_fma_f64 v[127:128], v[52:53], s[2:3], v[167:168]
	v_fma_f64 v[81:82], v[137:138], s[2:3], v[81:82]
	v_fma_f64 v[52:53], v[52:53], s[0:1], v[83:84]
	v_add_f64 v[83:84], v[34:35], v[22:23]
	v_add_f64 v[129:130], v[36:37], v[24:25]
	v_fma_f64 v[101:102], v[105:106], s[0:1], v[101:102]
	v_fma_f64 v[105:106], v[105:106], s[2:3], v[107:108]
	;; [unrolled: 1-line block ×8, first 2 shown]
	s_mov_b32 s0, 0x372fe950
	s_mov_b32 s1, 0x3fd3c6ef
	v_add_f64 v[0:1], v[26:27], v[14:15]
	v_add_f64 v[2:3], v[28:29], v[16:17]
	;; [unrolled: 1-line block ×3, first 2 shown]
	v_lshlrev_b64 v[123:124], 4, v[8:9]
	v_add_f64 v[6:7], v[32:33], v[20:21]
	v_lshlrev_b32_e32 v8, 1, v80
	s_mov_b32 s3, 0x3febb67a
	s_delay_alu instid0(VALU_DEP_1)
	v_lshlrev_b64 v[135:136], 4, v[8:9]
	v_fma_f64 v[14:15], v[91:92], s[0:1], v[38:39]
	v_fma_f64 v[16:17], v[113:114], s[0:1], v[46:47]
	;; [unrolled: 1-line block ×16, first 2 shown]
	v_add_f64 v[10:11], v[83:84], v[10:11]
	v_add_f64 v[12:13], v[129:130], v[12:13]
	v_fma_f64 v[46:47], v[48:49], s[0:1], v[101:102]
	v_fma_f64 v[50:51], v[48:49], s[0:1], v[105:106]
	;; [unrolled: 1-line block ×8, first 2 shown]
	v_lshlrev_b32_e32 v8, 1, v76
	v_add_co_u32 v84, s0, s4, v123
	s_delay_alu instid0(VALU_DEP_1) | instskip(NEXT) | instid1(VALU_DEP_3)
	v_add_co_ci_u32_e64 v85, s0, s5, v124, s0
	v_lshlrev_b64 v[86:87], 4, v[8:9]
	v_lshlrev_b32_e32 v8, 1, v73
	v_add_co_u32 v88, s0, s4, v135
	s_delay_alu instid0(VALU_DEP_1) | instskip(NEXT) | instid1(VALU_DEP_3)
	v_add_co_ci_u32_e64 v89, s0, s5, v136, s0
	v_lshlrev_b64 v[90:91], 4, v[8:9]
	;; [unrolled: 5-line block ×3, first 2 shown]
	v_add3_u32 v8, 0, v59, v79
	ds_store_b128 v78, v[0:3]
	ds_store_b128 v78, v[14:17] offset:176
	ds_store_b128 v78, v[22:25] offset:352
	;; [unrolled: 1-line block ×14, first 2 shown]
	s_waitcnt lgkmcnt(0)
	s_barrier
	buffer_gl0_inv
	s_clause 0x3
	global_load_b128 v[0:3], v[84:85], off offset:720
	global_load_b128 v[4:7], v[84:85], off offset:704
	;; [unrolled: 1-line block ×4, first 2 shown]
	v_add_co_u32 v28, s0, s4, v90
	s_delay_alu instid0(VALU_DEP_1)
	v_add_co_ci_u32_e64 v29, s0, s5, v91, s0
	v_add_co_u32 v36, s0, s4, v92
	s_clause 0x1
	global_load_b128 v[16:19], v[86:87], off offset:720
	global_load_b128 v[20:23], v[86:87], off offset:704
	v_add_co_ci_u32_e64 v37, s0, s5, v93, s0
	s_clause 0x3
	global_load_b128 v[24:27], v[28:29], off offset:704
	global_load_b128 v[28:31], v[28:29], off offset:720
	;; [unrolled: 1-line block ×4, first 2 shown]
	ds_load_b128 v[40:43], v78 offset:880
	ds_load_b128 v[44:47], v78 offset:1760
	;; [unrolled: 1-line block ×10, first 2 shown]
	s_mov_b32 s0, 0xe8584caa
	s_mov_b32 s1, 0xbfebb67a
	;; [unrolled: 1-line block ×3, first 2 shown]
	s_waitcnt vmcnt(9) lgkmcnt(8)
	v_mul_f64 v[103:104], v[46:47], v[2:3]
	s_waitcnt vmcnt(8)
	v_mul_f64 v[56:57], v[42:43], v[6:7]
	v_mul_f64 v[6:7], v[40:41], v[6:7]
	;; [unrolled: 1-line block ×3, first 2 shown]
	s_waitcnt vmcnt(6) lgkmcnt(7)
	v_mul_f64 v[105:106], v[50:51], v[14:15]
	v_mul_f64 v[14:15], v[48:49], v[14:15]
	s_waitcnt lgkmcnt(6)
	v_mul_f64 v[107:108], v[54:55], v[10:11]
	v_mul_f64 v[10:11], v[52:53], v[10:11]
	s_waitcnt vmcnt(5) lgkmcnt(4)
	v_mul_f64 v[111:112], v[85:86], v[18:19]
	s_waitcnt vmcnt(4)
	v_mul_f64 v[109:110], v[81:82], v[22:23]
	v_mul_f64 v[22:23], v[79:80], v[22:23]
	;; [unrolled: 1-line block ×3, first 2 shown]
	s_waitcnt vmcnt(3) lgkmcnt(3)
	v_mul_f64 v[113:114], v[89:90], v[26:27]
	v_mul_f64 v[26:27], v[87:88], v[26:27]
	s_waitcnt vmcnt(2) lgkmcnt(2)
	v_mul_f64 v[115:116], v[93:94], v[30:31]
	v_mul_f64 v[30:31], v[91:92], v[30:31]
	s_waitcnt vmcnt(1) lgkmcnt(1)
	v_mul_f64 v[117:118], v[97:98], v[34:35]
	s_waitcnt vmcnt(0) lgkmcnt(0)
	v_mul_f64 v[119:120], v[101:102], v[38:39]
	v_mul_f64 v[34:35], v[95:96], v[34:35]
	;; [unrolled: 1-line block ×3, first 2 shown]
	v_fma_f64 v[44:45], v[44:45], v[0:1], v[103:104]
	v_fma_f64 v[40:41], v[40:41], v[4:5], v[56:57]
	v_fma_f64 v[42:43], v[42:43], v[4:5], -v[6:7]
	v_fma_f64 v[46:47], v[46:47], v[0:1], -v[2:3]
	v_fma_f64 v[48:49], v[48:49], v[12:13], v[105:106]
	v_fma_f64 v[50:51], v[50:51], v[12:13], -v[14:15]
	v_fma_f64 v[52:53], v[52:53], v[8:9], v[107:108]
	v_fma_f64 v[54:55], v[54:55], v[8:9], -v[10:11]
	ds_load_b128 v[0:3], v77
	ds_load_b128 v[4:7], v58
	v_fma_f64 v[56:57], v[79:80], v[20:21], v[109:110]
	v_fma_f64 v[20:21], v[81:82], v[20:21], -v[22:23]
	v_fma_f64 v[22:23], v[83:84], v[16:17], v[111:112]
	v_fma_f64 v[79:80], v[85:86], v[16:17], -v[18:19]
	;; [unrolled: 2-line block ×4, first 2 shown]
	v_fma_f64 v[30:31], v[95:96], v[32:33], v[117:118]
	v_fma_f64 v[83:84], v[99:100], v[36:37], v[119:120]
	v_fma_f64 v[32:33], v[97:98], v[32:33], -v[34:35]
	v_fma_f64 v[34:35], v[101:102], v[36:37], -v[38:39]
	ds_load_b128 v[8:11], v78 offset:352
	ds_load_b128 v[12:15], v78 offset:528
	;; [unrolled: 1-line block ×3, first 2 shown]
	s_waitcnt lgkmcnt(0)
	s_barrier
	buffer_gl0_inv
	v_add_f64 v[36:37], v[40:41], v[44:45]
	v_add_f64 v[101:102], v[0:1], v[40:41]
	;; [unrolled: 1-line block ×3, first 2 shown]
	v_add_f64 v[103:104], v[42:43], -v[46:47]
	v_add_f64 v[42:43], v[2:3], v[42:43]
	v_add_f64 v[85:86], v[48:49], v[52:53]
	;; [unrolled: 1-line block ×3, first 2 shown]
	v_add_f64 v[40:41], v[40:41], -v[44:45]
	v_add_f64 v[105:106], v[4:5], v[48:49]
	v_add_f64 v[109:110], v[8:9], v[56:57]
	;; [unrolled: 1-line block ×9, first 2 shown]
	v_add_f64 v[50:51], v[50:51], -v[54:55]
	v_add_f64 v[97:98], v[30:31], v[83:84]
	v_add_f64 v[48:49], v[48:49], -v[52:53]
	v_add_f64 v[99:100], v[32:33], v[34:35]
	v_add_f64 v[119:120], v[18:19], v[32:33]
	;; [unrolled: 1-line block ×3, first 2 shown]
	v_add_f64 v[121:122], v[20:21], -v[79:80]
	v_add_f64 v[56:57], v[56:57], -v[22:23]
	;; [unrolled: 1-line block ×4, first 2 shown]
	v_add_f64 v[117:118], v[16:17], v[30:31]
	v_add_f64 v[125:126], v[32:33], -v[34:35]
	v_add_f64 v[127:128], v[30:31], -v[83:84]
	v_fma_f64 v[36:37], v[36:37], -0.5, v[0:1]
	v_add_f64 v[0:1], v[101:102], v[44:45]
	v_fma_f64 v[38:39], v[38:39], -0.5, v[2:3]
	v_add_f64 v[2:3], v[42:43], v[46:47]
	v_fma_f64 v[85:86], v[85:86], -0.5, v[4:5]
	v_fma_f64 v[87:88], v[87:88], -0.5, v[6:7]
	v_add_f64 v[4:5], v[105:106], v[52:53]
	v_add_f64 v[6:7], v[107:108], v[54:55]
	v_fma_f64 v[89:90], v[89:90], -0.5, v[8:9]
	v_fma_f64 v[91:92], v[91:92], -0.5, v[10:11]
	v_add_f64 v[8:9], v[109:110], v[22:23]
	v_fma_f64 v[93:94], v[93:94], -0.5, v[12:13]
	v_fma_f64 v[95:96], v[95:96], -0.5, v[14:15]
	v_add_f64 v[12:13], v[113:114], v[26:27]
	v_fma_f64 v[97:98], v[97:98], -0.5, v[16:17]
	v_add_f64 v[14:15], v[115:116], v[28:29]
	;; [unrolled: 2-line block ×3, first 2 shown]
	v_add_f64 v[10:11], v[111:112], v[79:80]
	v_add_f64 v[16:17], v[117:118], v[83:84]
	v_fma_f64 v[20:21], v[103:104], s[0:1], v[36:37]
	v_fma_f64 v[24:25], v[103:104], s[2:3], v[36:37]
	;; [unrolled: 1-line block ×20, first 2 shown]
	ds_store_b128 v78, v[0:3]
	ds_store_b128 v78, v[20:23] offset:880
	ds_store_b128 v78, v[24:27] offset:1760
	ds_store_b128 v58, v[4:7]
	ds_store_b128 v58, v[28:31] offset:880
	ds_store_b128 v58, v[32:35] offset:1760
	;; [unrolled: 1-line block ×11, first 2 shown]
	s_waitcnt lgkmcnt(0)
	s_barrier
	buffer_gl0_inv
	s_and_saveexec_b32 s0, vcc_lo
	s_cbranch_execz .LBB0_16
; %bb.15:
	v_mad_u64_u32 v[8:9], null, s8, v74, 0
	v_mad_u64_u32 v[12:13], null, s8, v75, 0
	;; [unrolled: 1-line block ×4, first 2 shown]
	s_delay_alu instid0(VALU_DEP_4) | instskip(SKIP_4) | instid1(VALU_DEP_3)
	v_mov_b32_e32 v0, v9
	v_mad_u64_u32 v[20:21], null, s8, v71, 0
	v_mov_b32_e32 v1, v13
	v_add_co_u32 v30, vcc_lo, s10, v60
	v_add_co_ci_u32_e32 v31, vcc_lo, s11, v61, vcc_lo
	v_mad_u64_u32 v[2:3], null, s9, v74, v[0:1]
	v_mov_b32_e32 v0, v15
	v_mad_u64_u32 v[24:25], null, s9, v73, v[19:20]
	v_mad_u64_u32 v[22:23], null, s8, v72, 0
	s_delay_alu instid0(VALU_DEP_3)
	v_mad_u64_u32 v[15:16], null, s9, v76, v[0:1]
	v_mad_u64_u32 v[10:11], null, s9, v75, v[1:2]
	v_mov_b32_e32 v9, v2
	ds_load_b128 v[0:3], v77
	ds_load_b128 v[4:7], v77 offset:176
	v_mov_b32_e32 v19, v21
	v_mov_b32_e32 v21, v23
	v_lshlrev_b64 v[14:15], 4, v[14:15]
	v_lshlrev_b64 v[16:17], 4, v[8:9]
	v_mov_b32_e32 v13, v10
	ds_load_b128 v[8:11], v77 offset:352
	v_mad_u64_u32 v[25:26], null, s9, v71, v[19:20]
	v_mov_b32_e32 v19, v24
	v_lshlrev_b64 v[12:13], 4, v[12:13]
	v_add_co_u32 v16, vcc_lo, v30, v16
	v_add_co_ci_u32_e32 v17, vcc_lo, v31, v17, vcc_lo
	v_mad_u64_u32 v[26:27], null, s9, v72, v[21:22]
	s_delay_alu instid0(VALU_DEP_4)
	v_add_co_u32 v12, vcc_lo, v30, v12
	v_add_co_ci_u32_e32 v13, vcc_lo, v31, v13, vcc_lo
	v_add_co_u32 v14, vcc_lo, v30, v14
	s_waitcnt lgkmcnt(2)
	global_store_b128 v[16:17], v[0:3], off
	s_waitcnt lgkmcnt(1)
	global_store_b128 v[12:13], v[4:7], off
	v_lshlrev_b64 v[4:5], 4, v[18:19]
	v_add_co_ci_u32_e32 v15, vcc_lo, v31, v15, vcc_lo
	v_mad_u64_u32 v[12:13], null, s8, v70, 0
	ds_load_b128 v[0:3], v77 offset:528
	s_waitcnt lgkmcnt(1)
	global_store_b128 v[14:15], v[8:11], off
	v_add_co_u32 v14, vcc_lo, v30, v4
	v_add_co_ci_u32_e32 v15, vcc_lo, v31, v5, vcc_lo
	ds_load_b128 v[4:7], v77 offset:704
	ds_load_b128 v[8:11], v77 offset:880
	v_mov_b32_e32 v21, v25
	v_mov_b32_e32 v23, v26
	s_delay_alu instid0(VALU_DEP_2) | instskip(NEXT) | instid1(VALU_DEP_2)
	v_lshlrev_b64 v[16:17], 4, v[20:21]
	v_lshlrev_b64 v[18:19], 4, v[22:23]
	v_mad_u64_u32 v[20:21], null, s8, v69, 0
	v_mad_u64_u32 v[22:23], null, s9, v70, v[13:14]
	s_delay_alu instid0(VALU_DEP_4) | instskip(SKIP_2) | instid1(VALU_DEP_4)
	v_add_co_u32 v16, vcc_lo, v30, v16
	v_add_co_ci_u32_e32 v17, vcc_lo, v31, v17, vcc_lo
	v_mad_u64_u32 v[23:24], null, s8, v68, 0
	v_mad_u64_u32 v[25:26], null, s9, v69, v[21:22]
	v_add_co_u32 v18, vcc_lo, v30, v18
	v_add_co_ci_u32_e32 v19, vcc_lo, v31, v19, vcc_lo
	s_waitcnt lgkmcnt(2)
	global_store_b128 v[14:15], v[0:3], off
	s_waitcnt lgkmcnt(1)
	global_store_b128 v[16:17], v[4:7], off
	s_waitcnt lgkmcnt(0)
	global_store_b128 v[18:19], v[8:11], off
	v_mad_u64_u32 v[16:17], null, s8, v67, 0
	v_dual_mov_b32 v2, v24 :: v_dual_mov_b32 v21, v25
	v_mov_b32_e32 v13, v22
	s_delay_alu instid0(VALU_DEP_2) | instskip(NEXT) | instid1(VALU_DEP_3)
	v_mad_u64_u32 v[8:9], null, s9, v68, v[2:3]
	v_lshlrev_b64 v[10:11], 4, v[20:21]
	v_mov_b32_e32 v9, v17
	s_delay_alu instid0(VALU_DEP_4) | instskip(NEXT) | instid1(VALU_DEP_2)
	v_lshlrev_b64 v[0:1], 4, v[12:13]
	v_mad_u64_u32 v[20:21], null, s9, v67, v[9:10]
	v_mad_u64_u32 v[21:22], null, s8, v66, 0
	s_delay_alu instid0(VALU_DEP_3) | instskip(NEXT) | instid1(VALU_DEP_4)
	v_add_co_u32 v18, vcc_lo, v30, v0
	v_add_co_ci_u32_e32 v19, vcc_lo, v31, v1, vcc_lo
	ds_load_b128 v[0:3], v77 offset:1056
	ds_load_b128 v[4:7], v77 offset:1232
	v_dual_mov_b32 v17, v20 :: v_dual_mov_b32 v20, v22
	v_add_co_u32 v25, vcc_lo, v30, v10
	v_mov_b32_e32 v24, v8
	v_add_co_ci_u32_e32 v26, vcc_lo, v31, v11, vcc_lo
	ds_load_b128 v[8:11], v77 offset:1408
	ds_load_b128 v[12:15], v77 offset:1584
	v_mad_u64_u32 v[27:28], null, s9, v66, v[20:21]
	v_lshlrev_b64 v[23:24], 4, v[23:24]
	v_mad_u64_u32 v[28:29], null, s8, v65, 0
	v_lshlrev_b64 v[16:17], 4, v[16:17]
	s_delay_alu instid0(VALU_DEP_4) | instskip(NEXT) | instid1(VALU_DEP_4)
	v_mov_b32_e32 v22, v27
	v_add_co_u32 v23, vcc_lo, v30, v23
	v_add_co_ci_u32_e32 v24, vcc_lo, v31, v24, vcc_lo
	s_waitcnt lgkmcnt(3)
	global_store_b128 v[18:19], v[0:3], off
	v_lshlrev_b64 v[1:2], 4, v[21:22]
	v_add_co_u32 v16, vcc_lo, v30, v16
	v_mov_b32_e32 v0, v29
	v_add_co_ci_u32_e32 v17, vcc_lo, v31, v17, vcc_lo
	s_waitcnt lgkmcnt(2)
	global_store_b128 v[25:26], v[4:7], off
	s_waitcnt lgkmcnt(1)
	global_store_b128 v[23:24], v[8:11], off
	;; [unrolled: 2-line block ×3, first 2 shown]
	v_mad_u64_u32 v[8:9], null, s8, v64, 0
	v_mad_u64_u32 v[3:4], null, s9, v65, v[0:1]
	;; [unrolled: 1-line block ×4, first 2 shown]
	s_delay_alu instid0(VALU_DEP_4) | instskip(SKIP_3) | instid1(VALU_DEP_4)
	v_mov_b32_e32 v0, v9
	v_add_co_u32 v22, vcc_lo, v30, v1
	v_mov_b32_e32 v29, v3
	v_add_co_ci_u32_e32 v23, vcc_lo, v31, v2, vcc_lo
	v_mad_u64_u32 v[9:10], null, s9, v64, v[0:1]
	v_mov_b32_e32 v10, v21
	s_delay_alu instid0(VALU_DEP_4)
	v_lshlrev_b64 v[11:12], 4, v[28:29]
	v_mov_b32_e32 v13, v25
	ds_load_b128 v[0:3], v77 offset:1760
	ds_load_b128 v[4:7], v77 offset:1936
	v_lshlrev_b64 v[28:29], 4, v[8:9]
	v_mad_u64_u32 v[14:15], null, s9, v63, v[10:11]
	s_delay_alu instid0(VALU_DEP_1)
	v_mad_u64_u32 v[25:26], null, s9, v62, v[13:14]
	v_add_co_u32 v26, vcc_lo, v30, v11
	v_add_co_ci_u32_e32 v27, vcc_lo, v31, v12, vcc_lo
	v_mov_b32_e32 v21, v14
	ds_load_b128 v[8:11], v77 offset:2112
	ds_load_b128 v[12:15], v77 offset:2288
	;; [unrolled: 1-line block ×3, first 2 shown]
	v_add_co_u32 v28, vcc_lo, v30, v28
	v_lshlrev_b64 v[24:25], 4, v[24:25]
	v_lshlrev_b64 v[20:21], 4, v[20:21]
	v_add_co_ci_u32_e32 v29, vcc_lo, v31, v29, vcc_lo
	s_delay_alu instid0(VALU_DEP_2) | instskip(NEXT) | instid1(VALU_DEP_3)
	v_add_co_u32 v20, vcc_lo, v30, v20
	v_add_co_ci_u32_e32 v21, vcc_lo, v31, v21, vcc_lo
	v_add_co_u32 v24, vcc_lo, v30, v24
	v_add_co_ci_u32_e32 v25, vcc_lo, v31, v25, vcc_lo
	s_waitcnt lgkmcnt(4)
	global_store_b128 v[22:23], v[0:3], off
	s_waitcnt lgkmcnt(3)
	global_store_b128 v[26:27], v[4:7], off
	;; [unrolled: 2-line block ×5, first 2 shown]
.LBB0_16:
	s_nop 0
	s_sendmsg sendmsg(MSG_DEALLOC_VGPRS)
	s_endpgm
	.section	.rodata,"a",@progbits
	.p2align	6, 0x0
	.amdhsa_kernel fft_rtc_back_len165_factors_11_5_3_wgs_55_tpt_11_dp_ip_CI_sbrr_dirReg
		.amdhsa_group_segment_fixed_size 0
		.amdhsa_private_segment_fixed_size 0
		.amdhsa_kernarg_size 88
		.amdhsa_user_sgpr_count 15
		.amdhsa_user_sgpr_dispatch_ptr 0
		.amdhsa_user_sgpr_queue_ptr 0
		.amdhsa_user_sgpr_kernarg_segment_ptr 1
		.amdhsa_user_sgpr_dispatch_id 0
		.amdhsa_user_sgpr_private_segment_size 0
		.amdhsa_wavefront_size32 1
		.amdhsa_uses_dynamic_stack 0
		.amdhsa_enable_private_segment 0
		.amdhsa_system_sgpr_workgroup_id_x 1
		.amdhsa_system_sgpr_workgroup_id_y 0
		.amdhsa_system_sgpr_workgroup_id_z 0
		.amdhsa_system_sgpr_workgroup_info 0
		.amdhsa_system_vgpr_workitem_id 0
		.amdhsa_next_free_vgpr 228
		.amdhsa_next_free_sgpr 38
		.amdhsa_reserve_vcc 1
		.amdhsa_float_round_mode_32 0
		.amdhsa_float_round_mode_16_64 0
		.amdhsa_float_denorm_mode_32 3
		.amdhsa_float_denorm_mode_16_64 3
		.amdhsa_dx10_clamp 1
		.amdhsa_ieee_mode 1
		.amdhsa_fp16_overflow 0
		.amdhsa_workgroup_processor_mode 1
		.amdhsa_memory_ordered 1
		.amdhsa_forward_progress 0
		.amdhsa_shared_vgpr_count 0
		.amdhsa_exception_fp_ieee_invalid_op 0
		.amdhsa_exception_fp_denorm_src 0
		.amdhsa_exception_fp_ieee_div_zero 0
		.amdhsa_exception_fp_ieee_overflow 0
		.amdhsa_exception_fp_ieee_underflow 0
		.amdhsa_exception_fp_ieee_inexact 0
		.amdhsa_exception_int_div_zero 0
	.end_amdhsa_kernel
	.text
.Lfunc_end0:
	.size	fft_rtc_back_len165_factors_11_5_3_wgs_55_tpt_11_dp_ip_CI_sbrr_dirReg, .Lfunc_end0-fft_rtc_back_len165_factors_11_5_3_wgs_55_tpt_11_dp_ip_CI_sbrr_dirReg
                                        ; -- End function
	.section	.AMDGPU.csdata,"",@progbits
; Kernel info:
; codeLenInByte = 12824
; NumSgprs: 40
; NumVgprs: 228
; ScratchSize: 0
; MemoryBound: 0
; FloatMode: 240
; IeeeMode: 1
; LDSByteSize: 0 bytes/workgroup (compile time only)
; SGPRBlocks: 4
; VGPRBlocks: 28
; NumSGPRsForWavesPerEU: 40
; NumVGPRsForWavesPerEU: 228
; Occupancy: 6
; WaveLimiterHint : 1
; COMPUTE_PGM_RSRC2:SCRATCH_EN: 0
; COMPUTE_PGM_RSRC2:USER_SGPR: 15
; COMPUTE_PGM_RSRC2:TRAP_HANDLER: 0
; COMPUTE_PGM_RSRC2:TGID_X_EN: 1
; COMPUTE_PGM_RSRC2:TGID_Y_EN: 0
; COMPUTE_PGM_RSRC2:TGID_Z_EN: 0
; COMPUTE_PGM_RSRC2:TIDIG_COMP_CNT: 0
	.text
	.p2alignl 7, 3214868480
	.fill 96, 4, 3214868480
	.type	__hip_cuid_4d404b437a928b22,@object ; @__hip_cuid_4d404b437a928b22
	.section	.bss,"aw",@nobits
	.globl	__hip_cuid_4d404b437a928b22
__hip_cuid_4d404b437a928b22:
	.byte	0                               ; 0x0
	.size	__hip_cuid_4d404b437a928b22, 1

	.ident	"AMD clang version 19.0.0git (https://github.com/RadeonOpenCompute/llvm-project roc-6.4.0 25133 c7fe45cf4b819c5991fe208aaa96edf142730f1d)"
	.section	".note.GNU-stack","",@progbits
	.addrsig
	.addrsig_sym __hip_cuid_4d404b437a928b22
	.amdgpu_metadata
---
amdhsa.kernels:
  - .args:
      - .actual_access:  read_only
        .address_space:  global
        .offset:         0
        .size:           8
        .value_kind:     global_buffer
      - .offset:         8
        .size:           8
        .value_kind:     by_value
      - .actual_access:  read_only
        .address_space:  global
        .offset:         16
        .size:           8
        .value_kind:     global_buffer
      - .actual_access:  read_only
        .address_space:  global
        .offset:         24
        .size:           8
        .value_kind:     global_buffer
      - .offset:         32
        .size:           8
        .value_kind:     by_value
      - .actual_access:  read_only
        .address_space:  global
        .offset:         40
        .size:           8
        .value_kind:     global_buffer
      - .actual_access:  read_only
        .address_space:  global
        .offset:         48
        .size:           8
        .value_kind:     global_buffer
      - .offset:         56
        .size:           4
        .value_kind:     by_value
      - .actual_access:  read_only
        .address_space:  global
        .offset:         64
        .size:           8
        .value_kind:     global_buffer
      - .actual_access:  read_only
        .address_space:  global
        .offset:         72
        .size:           8
        .value_kind:     global_buffer
      - .address_space:  global
        .offset:         80
        .size:           8
        .value_kind:     global_buffer
    .group_segment_fixed_size: 0
    .kernarg_segment_align: 8
    .kernarg_segment_size: 88
    .language:       OpenCL C
    .language_version:
      - 2
      - 0
    .max_flat_workgroup_size: 55
    .name:           fft_rtc_back_len165_factors_11_5_3_wgs_55_tpt_11_dp_ip_CI_sbrr_dirReg
    .private_segment_fixed_size: 0
    .sgpr_count:     40
    .sgpr_spill_count: 0
    .symbol:         fft_rtc_back_len165_factors_11_5_3_wgs_55_tpt_11_dp_ip_CI_sbrr_dirReg.kd
    .uniform_work_group_size: 1
    .uses_dynamic_stack: false
    .vgpr_count:     228
    .vgpr_spill_count: 0
    .wavefront_size: 32
    .workgroup_processor_mode: 1
amdhsa.target:   amdgcn-amd-amdhsa--gfx1100
amdhsa.version:
  - 1
  - 2
...

	.end_amdgpu_metadata
